;; amdgpu-corpus repo=ROCm/rocFFT kind=compiled arch=gfx906 opt=O3
	.text
	.amdgcn_target "amdgcn-amd-amdhsa--gfx906"
	.amdhsa_code_object_version 6
	.protected	fft_rtc_fwd_len1152_factors_4_3_8_3_4_wgs_144_tpt_144_halfLds_dp_ip_CI_unitstride_sbrr_dirReg ; -- Begin function fft_rtc_fwd_len1152_factors_4_3_8_3_4_wgs_144_tpt_144_halfLds_dp_ip_CI_unitstride_sbrr_dirReg
	.globl	fft_rtc_fwd_len1152_factors_4_3_8_3_4_wgs_144_tpt_144_halfLds_dp_ip_CI_unitstride_sbrr_dirReg
	.p2align	8
	.type	fft_rtc_fwd_len1152_factors_4_3_8_3_4_wgs_144_tpt_144_halfLds_dp_ip_CI_unitstride_sbrr_dirReg,@function
fft_rtc_fwd_len1152_factors_4_3_8_3_4_wgs_144_tpt_144_halfLds_dp_ip_CI_unitstride_sbrr_dirReg: ; @fft_rtc_fwd_len1152_factors_4_3_8_3_4_wgs_144_tpt_144_halfLds_dp_ip_CI_unitstride_sbrr_dirReg
; %bb.0:
	s_load_dwordx2 s[12:13], s[4:5], 0x50
	s_load_dwordx4 s[8:11], s[4:5], 0x0
	s_load_dwordx2 s[2:3], s[4:5], 0x18
	v_mul_u32_u24_e32 v1, 0x1c8, v0
	v_add_u32_sdwa v5, s6, v1 dst_sel:DWORD dst_unused:UNUSED_PAD src0_sel:DWORD src1_sel:WORD_1
	v_mov_b32_e32 v3, 0
	s_waitcnt lgkmcnt(0)
	v_cmp_lt_u64_e64 s[0:1], s[10:11], 2
	v_mov_b32_e32 v1, 0
	v_mov_b32_e32 v6, v3
	s_and_b64 vcc, exec, s[0:1]
	v_mov_b32_e32 v2, 0
	s_cbranch_vccnz .LBB0_8
; %bb.1:
	s_load_dwordx2 s[0:1], s[4:5], 0x10
	s_add_u32 s6, s2, 8
	s_addc_u32 s7, s3, 0
	v_mov_b32_e32 v1, 0
	v_mov_b32_e32 v2, 0
	s_waitcnt lgkmcnt(0)
	s_add_u32 s14, s0, 8
	s_addc_u32 s15, s1, 0
	s_mov_b64 s[16:17], 1
.LBB0_2:                                ; =>This Inner Loop Header: Depth=1
	s_load_dwordx2 s[18:19], s[14:15], 0x0
                                        ; implicit-def: $vgpr7_vgpr8
	s_waitcnt lgkmcnt(0)
	v_or_b32_e32 v4, s19, v6
	v_cmp_ne_u64_e32 vcc, 0, v[3:4]
	s_and_saveexec_b64 s[0:1], vcc
	s_xor_b64 s[20:21], exec, s[0:1]
	s_cbranch_execz .LBB0_4
; %bb.3:                                ;   in Loop: Header=BB0_2 Depth=1
	v_cvt_f32_u32_e32 v4, s18
	v_cvt_f32_u32_e32 v7, s19
	s_sub_u32 s0, 0, s18
	s_subb_u32 s1, 0, s19
	v_mac_f32_e32 v4, 0x4f800000, v7
	v_rcp_f32_e32 v4, v4
	v_mul_f32_e32 v4, 0x5f7ffffc, v4
	v_mul_f32_e32 v7, 0x2f800000, v4
	v_trunc_f32_e32 v7, v7
	v_mac_f32_e32 v4, 0xcf800000, v7
	v_cvt_u32_f32_e32 v7, v7
	v_cvt_u32_f32_e32 v4, v4
	v_mul_lo_u32 v8, s0, v7
	v_mul_hi_u32 v9, s0, v4
	v_mul_lo_u32 v11, s1, v4
	v_mul_lo_u32 v10, s0, v4
	v_add_u32_e32 v8, v9, v8
	v_add_u32_e32 v8, v8, v11
	v_mul_hi_u32 v9, v4, v10
	v_mul_lo_u32 v11, v4, v8
	v_mul_hi_u32 v13, v4, v8
	v_mul_hi_u32 v12, v7, v10
	v_mul_lo_u32 v10, v7, v10
	v_mul_hi_u32 v14, v7, v8
	v_add_co_u32_e32 v9, vcc, v9, v11
	v_addc_co_u32_e32 v11, vcc, 0, v13, vcc
	v_mul_lo_u32 v8, v7, v8
	v_add_co_u32_e32 v9, vcc, v9, v10
	v_addc_co_u32_e32 v9, vcc, v11, v12, vcc
	v_addc_co_u32_e32 v10, vcc, 0, v14, vcc
	v_add_co_u32_e32 v8, vcc, v9, v8
	v_addc_co_u32_e32 v9, vcc, 0, v10, vcc
	v_add_co_u32_e32 v4, vcc, v4, v8
	v_addc_co_u32_e32 v7, vcc, v7, v9, vcc
	v_mul_lo_u32 v8, s0, v7
	v_mul_hi_u32 v9, s0, v4
	v_mul_lo_u32 v10, s1, v4
	v_mul_lo_u32 v11, s0, v4
	v_add_u32_e32 v8, v9, v8
	v_add_u32_e32 v8, v8, v10
	v_mul_lo_u32 v12, v4, v8
	v_mul_hi_u32 v13, v4, v11
	v_mul_hi_u32 v14, v4, v8
	;; [unrolled: 1-line block ×3, first 2 shown]
	v_mul_lo_u32 v11, v7, v11
	v_mul_hi_u32 v9, v7, v8
	v_add_co_u32_e32 v12, vcc, v13, v12
	v_addc_co_u32_e32 v13, vcc, 0, v14, vcc
	v_mul_lo_u32 v8, v7, v8
	v_add_co_u32_e32 v11, vcc, v12, v11
	v_addc_co_u32_e32 v10, vcc, v13, v10, vcc
	v_addc_co_u32_e32 v9, vcc, 0, v9, vcc
	v_add_co_u32_e32 v8, vcc, v10, v8
	v_addc_co_u32_e32 v9, vcc, 0, v9, vcc
	v_add_co_u32_e32 v4, vcc, v4, v8
	v_addc_co_u32_e32 v9, vcc, v7, v9, vcc
	v_mad_u64_u32 v[7:8], s[0:1], v5, v9, 0
	v_mul_hi_u32 v10, v5, v4
	v_add_co_u32_e32 v11, vcc, v10, v7
	v_addc_co_u32_e32 v12, vcc, 0, v8, vcc
	v_mad_u64_u32 v[7:8], s[0:1], v6, v4, 0
	v_mad_u64_u32 v[9:10], s[0:1], v6, v9, 0
	v_add_co_u32_e32 v4, vcc, v11, v7
	v_addc_co_u32_e32 v4, vcc, v12, v8, vcc
	v_addc_co_u32_e32 v7, vcc, 0, v10, vcc
	v_add_co_u32_e32 v4, vcc, v4, v9
	v_addc_co_u32_e32 v9, vcc, 0, v7, vcc
	v_mul_lo_u32 v10, s19, v4
	v_mul_lo_u32 v11, s18, v9
	v_mad_u64_u32 v[7:8], s[0:1], s18, v4, 0
	v_add3_u32 v8, v8, v11, v10
	v_sub_u32_e32 v10, v6, v8
	v_mov_b32_e32 v11, s19
	v_sub_co_u32_e32 v7, vcc, v5, v7
	v_subb_co_u32_e64 v10, s[0:1], v10, v11, vcc
	v_subrev_co_u32_e64 v11, s[0:1], s18, v7
	v_subbrev_co_u32_e64 v10, s[0:1], 0, v10, s[0:1]
	v_cmp_le_u32_e64 s[0:1], s19, v10
	v_cndmask_b32_e64 v12, 0, -1, s[0:1]
	v_cmp_le_u32_e64 s[0:1], s18, v11
	v_cndmask_b32_e64 v11, 0, -1, s[0:1]
	v_cmp_eq_u32_e64 s[0:1], s19, v10
	v_cndmask_b32_e64 v10, v12, v11, s[0:1]
	v_add_co_u32_e64 v11, s[0:1], 2, v4
	v_addc_co_u32_e64 v12, s[0:1], 0, v9, s[0:1]
	v_add_co_u32_e64 v13, s[0:1], 1, v4
	v_addc_co_u32_e64 v14, s[0:1], 0, v9, s[0:1]
	v_subb_co_u32_e32 v8, vcc, v6, v8, vcc
	v_cmp_ne_u32_e64 s[0:1], 0, v10
	v_cmp_le_u32_e32 vcc, s19, v8
	v_cndmask_b32_e64 v10, v14, v12, s[0:1]
	v_cndmask_b32_e64 v12, 0, -1, vcc
	v_cmp_le_u32_e32 vcc, s18, v7
	v_cndmask_b32_e64 v7, 0, -1, vcc
	v_cmp_eq_u32_e32 vcc, s19, v8
	v_cndmask_b32_e32 v7, v12, v7, vcc
	v_cmp_ne_u32_e32 vcc, 0, v7
	v_cndmask_b32_e64 v7, v13, v11, s[0:1]
	v_cndmask_b32_e32 v8, v9, v10, vcc
	v_cndmask_b32_e32 v7, v4, v7, vcc
.LBB0_4:                                ;   in Loop: Header=BB0_2 Depth=1
	s_andn2_saveexec_b64 s[0:1], s[20:21]
	s_cbranch_execz .LBB0_6
; %bb.5:                                ;   in Loop: Header=BB0_2 Depth=1
	v_cvt_f32_u32_e32 v4, s18
	s_sub_i32 s20, 0, s18
	v_rcp_iflag_f32_e32 v4, v4
	v_mul_f32_e32 v4, 0x4f7ffffe, v4
	v_cvt_u32_f32_e32 v4, v4
	v_mul_lo_u32 v7, s20, v4
	v_mul_hi_u32 v7, v4, v7
	v_add_u32_e32 v4, v4, v7
	v_mul_hi_u32 v4, v5, v4
	v_mul_lo_u32 v7, v4, s18
	v_add_u32_e32 v8, 1, v4
	v_sub_u32_e32 v7, v5, v7
	v_subrev_u32_e32 v9, s18, v7
	v_cmp_le_u32_e32 vcc, s18, v7
	v_cndmask_b32_e32 v7, v7, v9, vcc
	v_cndmask_b32_e32 v4, v4, v8, vcc
	v_add_u32_e32 v8, 1, v4
	v_cmp_le_u32_e32 vcc, s18, v7
	v_cndmask_b32_e32 v7, v4, v8, vcc
	v_mov_b32_e32 v8, v3
.LBB0_6:                                ;   in Loop: Header=BB0_2 Depth=1
	s_or_b64 exec, exec, s[0:1]
	v_mul_lo_u32 v4, v8, s18
	v_mul_lo_u32 v11, v7, s19
	v_mad_u64_u32 v[9:10], s[0:1], v7, s18, 0
	s_load_dwordx2 s[0:1], s[6:7], 0x0
	s_add_u32 s16, s16, 1
	v_add3_u32 v4, v10, v11, v4
	v_sub_co_u32_e32 v5, vcc, v5, v9
	v_subb_co_u32_e32 v4, vcc, v6, v4, vcc
	s_waitcnt lgkmcnt(0)
	v_mul_lo_u32 v4, s0, v4
	v_mul_lo_u32 v6, s1, v5
	v_mad_u64_u32 v[1:2], s[0:1], s0, v5, v[1:2]
	s_addc_u32 s17, s17, 0
	s_add_u32 s6, s6, 8
	v_add3_u32 v2, v6, v2, v4
	v_mov_b32_e32 v4, s10
	v_mov_b32_e32 v5, s11
	s_addc_u32 s7, s7, 0
	v_cmp_ge_u64_e32 vcc, s[16:17], v[4:5]
	s_add_u32 s14, s14, 8
	s_addc_u32 s15, s15, 0
	s_cbranch_vccnz .LBB0_9
; %bb.7:                                ;   in Loop: Header=BB0_2 Depth=1
	v_mov_b32_e32 v5, v7
	v_mov_b32_e32 v6, v8
	s_branch .LBB0_2
.LBB0_8:
	v_mov_b32_e32 v8, v6
	v_mov_b32_e32 v7, v5
.LBB0_9:
	s_lshl_b64 s[0:1], s[10:11], 3
	s_add_u32 s0, s2, s0
	s_addc_u32 s1, s3, s1
	s_load_dwordx2 s[2:3], s[0:1], 0x0
	s_load_dwordx2 s[6:7], s[4:5], 0x20
                                        ; implicit-def: $vgpr24_vgpr25
                                        ; implicit-def: $vgpr12_vgpr13
                                        ; implicit-def: $vgpr16_vgpr17
                                        ; implicit-def: $vgpr20_vgpr21
                                        ; implicit-def: $vgpr28_vgpr29
                                        ; implicit-def: $vgpr32_vgpr33
	s_waitcnt lgkmcnt(0)
	v_mad_u64_u32 v[1:2], s[0:1], s2, v7, v[1:2]
	v_mul_lo_u32 v3, s2, v8
	v_mul_lo_u32 v4, s3, v7
	s_mov_b32 s0, 0x1c71c72
	v_mul_hi_u32 v5, v0, s0
	v_cmp_gt_u64_e32 vcc, s[6:7], v[7:8]
	v_add3_u32 v2, v4, v2, v3
	v_lshlrev_b64 v[40:41], 4, v[1:2]
	v_mul_u32_u24_e32 v3, 0x90, v5
	v_sub_u32_e32 v38, v0, v3
                                        ; implicit-def: $vgpr8_vgpr9
                                        ; implicit-def: $vgpr4_vgpr5
	s_and_saveexec_b64 s[2:3], vcc
	s_cbranch_execz .LBB0_11
; %bb.10:
	v_mov_b32_e32 v39, 0
	v_mov_b32_e32 v0, s13
	v_add_co_u32_e64 v2, s[0:1], s12, v40
	v_addc_co_u32_e64 v3, s[0:1], v0, v41, s[0:1]
	v_lshlrev_b64 v[0:1], 4, v[38:39]
	v_add_co_u32_e64 v0, s[0:1], v2, v0
	v_addc_co_u32_e64 v1, s[0:1], v3, v1, s[0:1]
	s_movk_i32 s0, 0x1000
	v_add_co_u32_e64 v34, s[0:1], s0, v0
	v_addc_co_u32_e64 v35, s[0:1], 0, v1, s[0:1]
	s_movk_i32 s0, 0x2000
	;; [unrolled: 3-line block ×3, first 2 shown]
	v_add_co_u32_e64 v42, s[0:1], s0, v0
	v_addc_co_u32_e64 v43, s[0:1], 0, v1, s[0:1]
	global_load_dwordx4 v[2:5], v[0:1], off
	global_load_dwordx4 v[14:17], v[0:1], off offset:2304
	global_load_dwordx4 v[6:9], v[34:35], off offset:512
	;; [unrolled: 1-line block ×7, first 2 shown]
.LBB0_11:
	s_or_b64 exec, exec, s[2:3]
	s_waitcnt vmcnt(3)
	v_add_f64 v[34:35], v[2:3], -v[22:23]
	s_waitcnt vmcnt(1)
	v_add_f64 v[10:11], v[6:7], -v[10:11]
	v_add_f64 v[36:37], v[14:15], -v[26:27]
	s_waitcnt vmcnt(0)
	v_add_f64 v[22:23], v[18:19], -v[30:31]
	v_add_f64 v[44:45], v[8:9], -v[12:13]
	;; [unrolled: 1-line block ×3, first 2 shown]
	s_movk_i32 s0, 0xffe8
	v_add_u32_e32 v54, 0x90, v38
	v_fma_f64 v[30:31], v[2:3], 2.0, -v[34:35]
	v_fma_f64 v[0:1], v[6:7], 2.0, -v[10:11]
	;; [unrolled: 1-line block ×4, first 2 shown]
	v_add_f64 v[14:15], v[34:35], -v[44:45]
	v_add_f64 v[2:3], v[36:37], -v[26:27]
	;; [unrolled: 1-line block ×4, first 2 shown]
	v_fma_f64 v[32:33], v[34:35], 2.0, -v[14:15]
	v_fma_f64 v[36:37], v[36:37], 2.0, -v[2:3]
	v_lshl_add_u32 v6, v38, 5, 0
	v_mad_i32_i24 v18, v38, s0, v6
	v_lshl_add_u32 v7, v54, 5, 0
	v_fma_f64 v[30:31], v[30:31], 2.0, -v[12:13]
	v_add_u32_e32 v19, 0xc00, v18
	v_fma_f64 v[34:35], v[42:43], 2.0, -v[0:1]
	v_add_u32_e32 v39, 0x1800, v18
	s_movk_i32 s0, 0x60
	ds_write_b128 v6, v[12:15] offset:16
	ds_write_b128 v7, v[0:3] offset:16
	ds_write_b128 v6, v[30:33]
	ds_write_b128 v7, v[34:37]
	s_waitcnt lgkmcnt(0)
	s_barrier
	ds_read2_b64 v[12:15], v18 offset1:144
	ds_read2_b64 v[30:33], v19 offset1:144
	;; [unrolled: 1-line block ×3, first 2 shown]
	v_mul_i32_i24_e32 v18, 0xffffffe8, v38
	v_cmp_gt_u32_e64 s[0:1], s0, v38
	v_add_u32_e32 v55, v6, v18
                                        ; implicit-def: $vgpr42_vgpr43
	s_and_saveexec_b64 s[2:3], s[0:1]
	s_cbranch_execz .LBB0_13
; %bb.12:
	v_add_u32_e32 v0, 0x100, v55
	ds_read2st64_b64 v[0:3], v0 offset0:4 offset1:10
	ds_read_b64 v[42:43], v55 offset:8448
.LBB0_13:
	s_or_b64 exec, exec, s[2:3]
	v_add_f64 v[24:25], v[4:5], -v[24:25]
	v_add_f64 v[28:29], v[16:17], -v[28:29]
	v_fma_f64 v[8:9], v[8:9], 2.0, -v[44:45]
	v_fma_f64 v[20:21], v[20:21], 2.0, -v[26:27]
	s_waitcnt lgkmcnt(0)
	s_barrier
	v_fma_f64 v[4:5], v[4:5], 2.0, -v[24:25]
	v_fma_f64 v[44:45], v[16:17], 2.0, -v[28:29]
	v_add_f64 v[18:19], v[10:11], v[24:25]
	v_add_f64 v[10:11], v[28:29], v[22:23]
	v_add_f64 v[16:17], v[4:5], -v[8:9]
	v_add_f64 v[8:9], v[44:45], -v[20:21]
	v_fma_f64 v[22:23], v[24:25], 2.0, -v[18:19]
	v_fma_f64 v[26:27], v[28:29], 2.0, -v[10:11]
	v_add_u32_e32 v28, 0xc00, v55
	v_add_u32_e32 v29, 0x1800, v55
	v_fma_f64 v[20:21], v[4:5], 2.0, -v[16:17]
	v_fma_f64 v[24:25], v[44:45], 2.0, -v[8:9]
                                        ; implicit-def: $vgpr44_vgpr45
	ds_write_b128 v6, v[16:19] offset:16
	ds_write_b128 v7, v[8:11] offset:16
	ds_write_b128 v6, v[20:23]
	ds_write_b128 v7, v[24:27]
	s_waitcnt lgkmcnt(0)
	s_barrier
	ds_read2_b64 v[4:7], v55 offset1:144
	ds_read2_b64 v[16:19], v28 offset1:144
	;; [unrolled: 1-line block ×3, first 2 shown]
	s_and_saveexec_b64 s[2:3], s[0:1]
	s_cbranch_execz .LBB0_15
; %bb.14:
	v_add_u32_e32 v8, 0x100, v55
	ds_read2st64_b64 v[8:11], v8 offset0:4 offset1:10
	ds_read_b64 v[44:45], v55 offset:8448
.LBB0_15:
	s_or_b64 exec, exec, s[2:3]
	v_and_b32_e32 v46, 3, v38
	v_lshlrev_b32_e32 v24, 5, v46
	global_load_dwordx4 v[47:50], v24, s[8:9] offset:16
	global_load_dwordx4 v[56:59], v24, s[8:9]
	s_mov_b32 s2, 0xe8584caa
	s_mov_b32 s3, 0x3febb67a
	;; [unrolled: 1-line block ×4, first 2 shown]
	s_waitcnt vmcnt(0) lgkmcnt(0)
	s_barrier
	v_add_u32_e32 v39, 0x120, v38
	v_mul_f64 v[24:25], v[20:21], v[49:50]
	v_fma_f64 v[28:29], v[34:35], v[47:48], -v[24:25]
	v_mul_f64 v[24:25], v[22:23], v[49:50]
	v_fma_f64 v[26:27], v[36:37], v[47:48], -v[24:25]
	v_mul_f64 v[24:25], v[34:35], v[49:50]
	v_mul_f64 v[34:35], v[36:37], v[49:50]
	v_fma_f64 v[24:25], v[20:21], v[47:48], v[24:25]
	v_mul_f64 v[20:21], v[44:45], v[49:50]
	v_fma_f64 v[22:23], v[22:23], v[47:48], v[34:35]
	v_mul_f64 v[34:35], v[16:17], v[58:59]
	v_fma_f64 v[36:37], v[42:43], v[47:48], -v[20:21]
	v_mul_f64 v[20:21], v[42:43], v[49:50]
	v_mul_f64 v[42:43], v[18:19], v[58:59]
	v_fma_f64 v[20:21], v[44:45], v[47:48], v[20:21]
	v_fma_f64 v[44:45], v[30:31], v[56:57], -v[34:35]
	v_fma_f64 v[42:43], v[32:33], v[56:57], -v[42:43]
	v_mul_f64 v[30:31], v[30:31], v[58:59]
	v_mul_f64 v[32:33], v[32:33], v[58:59]
	v_fma_f64 v[30:31], v[16:17], v[56:57], v[30:31]
	v_fma_f64 v[16:17], v[18:19], v[56:57], v[32:33]
	v_mul_f64 v[18:19], v[10:11], v[58:59]
	v_mul_f64 v[32:33], v[2:3], v[58:59]
	v_fma_f64 v[2:3], v[2:3], v[56:57], -v[18:19]
	v_fma_f64 v[18:19], v[10:11], v[56:57], v[32:33]
	v_add_f64 v[33:34], v[44:45], v[28:29]
	v_add_f64 v[10:11], v[12:13], v[44:45]
	v_lshrrev_b32_e32 v32, 2, v38
	v_mul_u32_u24_e32 v32, 12, v32
	v_or_b32_e32 v32, v32, v46
	v_lshl_add_u32 v32, v32, 3, 0
	v_fma_f64 v[12:13], v[33:34], -0.5, v[12:13]
	v_add_f64 v[33:34], v[30:31], -v[24:25]
	v_add_f64 v[10:11], v[10:11], v[28:29]
	v_fma_f64 v[47:48], v[33:34], s[2:3], v[12:13]
	ds_write2_b64 v32, v[10:11], v[47:48] offset1:4
	v_fma_f64 v[10:11], v[33:34], s[4:5], v[12:13]
	v_add_f64 v[12:13], v[42:43], v[26:27]
	v_lshrrev_b32_e32 v33, 2, v54
	v_mul_u32_u24_e32 v33, 12, v33
	v_or_b32_e32 v33, v33, v46
	v_lshl_add_u32 v33, v33, 3, 0
	v_lshrrev_b32_e32 v47, 2, v39
	ds_write_b64 v32, v[10:11] offset:64
	v_fma_f64 v[12:13], v[12:13], -0.5, v[14:15]
	v_add_f64 v[14:15], v[14:15], v[42:43]
	v_add_f64 v[10:11], v[16:17], -v[22:23]
	v_add_f64 v[14:15], v[14:15], v[26:27]
	v_fma_f64 v[34:35], v[10:11], s[2:3], v[12:13]
	ds_write2_b64 v33, v[14:15], v[34:35] offset1:4
	v_add_f64 v[14:15], v[2:3], v[36:37]
	v_fma_f64 v[34:35], v[10:11], s[4:5], v[12:13]
	v_add_f64 v[12:13], v[18:19], -v[20:21]
	v_fma_f64 v[10:11], v[14:15], -0.5, v[0:1]
	ds_write_b64 v33, v[34:35] offset:64
	v_fma_f64 v[34:35], v[12:13], s[4:5], v[10:11]
	s_and_saveexec_b64 s[6:7], s[0:1]
	s_cbranch_execz .LBB0_17
; %bb.16:
	v_mul_f64 v[12:13], v[12:13], s[2:3]
	v_add_f64 v[0:1], v[0:1], v[2:3]
	v_add_f64 v[10:11], v[12:13], v[10:11]
	v_add_f64 v[0:1], v[0:1], v[36:37]
	v_mul_u32_u24_e32 v12, 12, v47
	v_or_b32_e32 v12, v12, v46
	v_lshl_add_u32 v12, v12, 3, 0
	ds_write2_b64 v12, v[0:1], v[10:11] offset1:4
	ds_write_b64 v12, v[34:35] offset:64
.LBB0_17:
	s_or_b64 exec, exec, s[6:7]
	v_add_f64 v[0:1], v[30:31], v[24:25]
	v_add_f64 v[12:13], v[18:19], v[20:21]
	;; [unrolled: 1-line block ×4, first 2 shown]
	v_add_f64 v[30:31], v[44:45], -v[28:29]
	v_add_f64 v[28:29], v[2:3], -v[36:37]
	v_add_f64 v[16:17], v[6:7], v[16:17]
	s_waitcnt lgkmcnt(0)
	v_fma_f64 v[0:1], v[0:1], -0.5, v[4:5]
	v_add_f64 v[4:5], v[42:43], -v[26:27]
	v_fma_f64 v[26:27], v[12:13], -0.5, v[8:9]
	v_fma_f64 v[6:7], v[10:11], -0.5, v[6:7]
	v_add_f64 v[42:43], v[14:15], v[24:25]
	v_add_u32_e32 v24, 0x1800, v55
	v_add_f64 v[44:45], v[16:17], v[22:23]
	v_add_u32_e32 v23, 0x800, v55
	v_fma_f64 v[48:49], v[30:31], s[4:5], v[0:1]
	v_fma_f64 v[30:31], v[30:31], s[2:3], v[0:1]
	;; [unrolled: 1-line block ×4, first 2 shown]
	v_add_u32_e32 v22, 0x1000, v55
	v_fma_f64 v[52:53], v[4:5], s[2:3], v[6:7]
	s_barrier
	ds_read2_b64 v[0:3], v55 offset1:144
	ds_read2_b64 v[14:17], v23 offset0:32 offset1:176
	ds_read2_b64 v[4:7], v22 offset0:64 offset1:208
	;; [unrolled: 1-line block ×3, first 2 shown]
	s_waitcnt lgkmcnt(0)
	s_barrier
	ds_write2_b64 v32, v[42:43], v[48:49] offset1:4
	ds_write_b64 v32, v[30:31] offset:64
	ds_write2_b64 v33, v[44:45], v[50:51] offset1:4
	ds_write_b64 v33, v[52:53] offset:64
	s_and_saveexec_b64 s[4:5], s[0:1]
	s_cbranch_execz .LBB0_19
; %bb.18:
	v_add_f64 v[8:9], v[8:9], v[18:19]
	v_mul_f64 v[18:19], v[28:29], s[2:3]
	v_add_f64 v[8:9], v[8:9], v[20:21]
	v_add_f64 v[18:19], v[26:27], -v[18:19]
	v_mul_u32_u24_e32 v20, 12, v47
	v_or_b32_e32 v20, v20, v46
	v_lshl_add_u32 v20, v20, 3, 0
	ds_write2_b64 v20, v[8:9], v[18:19] offset1:4
	ds_write_b64 v20, v[36:37] offset:64
.LBB0_19:
	s_or_b64 exec, exec, s[4:5]
	s_movk_i32 s2, 0xab
	v_mul_lo_u16_sdwa v8, v38, s2 dst_sel:DWORD dst_unused:UNUSED_PAD src0_sel:BYTE_0 src1_sel:DWORD
	v_lshrrev_b16_e32 v58, 11, v8
	v_mul_lo_u16_e32 v8, 12, v58
	v_sub_u16_e32 v59, v38, v8
	v_mov_b32_e32 v8, 7
	v_mul_u32_u24_sdwa v8, v59, v8 dst_sel:DWORD dst_unused:UNUSED_PAD src0_sel:BYTE_0 src1_sel:DWORD
	v_lshlrev_b32_e32 v29, 4, v8
	s_waitcnt lgkmcnt(0)
	s_barrier
	global_load_dwordx4 v[18:21], v29, s[8:9] offset:144
	global_load_dwordx4 v[25:28], v29, s[8:9] offset:160
	;; [unrolled: 1-line block ×3, first 2 shown]
	ds_read2_b64 v[30:33], v23 offset0:32 offset1:176
	global_load_dwordx4 v[46:49], v29, s[8:9] offset:224
	s_mov_b32 s2, 0x667f3bcd
	s_mov_b32 s3, 0x3fe6a09e
	;; [unrolled: 1-line block ×4, first 2 shown]
	s_waitcnt vmcnt(3) lgkmcnt(0)
	v_mul_f64 v[8:9], v[30:31], v[20:21]
	v_mul_f64 v[20:21], v[14:15], v[20:21]
	s_waitcnt vmcnt(2)
	v_mul_f64 v[50:51], v[32:33], v[27:28]
	v_fma_f64 v[52:53], v[14:15], v[18:19], -v[8:9]
	v_fma_f64 v[30:31], v[30:31], v[18:19], v[20:21]
	global_load_dwordx4 v[18:21], v29, s[8:9] offset:128
	v_mul_f64 v[8:9], v[16:17], v[27:28]
	v_fma_f64 v[50:51], v[16:17], v[25:26], -v[50:51]
	global_load_dwordx4 v[14:17], v29, s[8:9] offset:192
	v_fma_f64 v[56:57], v[32:33], v[25:26], v[8:9]
	ds_read2_b64 v[25:28], v24 offset0:96 offset1:240
	s_waitcnt vmcnt(3)
	v_mul_f64 v[32:33], v[10:11], v[44:45]
	s_waitcnt lgkmcnt(0)
	v_mul_f64 v[8:9], v[25:26], v[44:45]
	v_fma_f64 v[32:33], v[25:26], v[42:43], v[32:33]
	s_waitcnt vmcnt(2)
	v_mul_f64 v[25:26], v[12:13], v[48:49]
	v_fma_f64 v[44:45], v[10:11], v[42:43], -v[8:9]
	v_mul_f64 v[8:9], v[27:28], v[48:49]
	v_fma_f64 v[42:43], v[27:28], v[46:47], v[25:26]
	v_fma_f64 v[12:13], v[12:13], v[46:47], -v[8:9]
	ds_read2_b64 v[8:11], v55 offset1:144
	v_add_f64 v[12:13], v[50:51], -v[12:13]
	s_waitcnt vmcnt(1) lgkmcnt(0)
	v_mul_f64 v[25:26], v[10:11], v[20:21]
	v_mul_f64 v[27:28], v[2:3], v[20:21]
	ds_read2_b64 v[20:23], v22 offset0:64 offset1:208
	s_waitcnt vmcnt(0) lgkmcnt(0)
	v_mul_f64 v[46:47], v[22:23], v[16:17]
	v_fma_f64 v[48:49], v[2:3], v[18:19], -v[25:26]
	v_fma_f64 v[2:3], v[10:11], v[18:19], v[27:28]
	global_load_dwordx4 v[26:29], v29, s[8:9] offset:176
	v_mul_f64 v[10:11], v[6:7], v[16:17]
	v_mul_u32_u24_e32 v25, 0x60, v58
	v_or_b32_sdwa v25, v25, v59 dst_sel:DWORD dst_unused:UNUSED_PAD src0_sel:DWORD src1_sel:BYTE_0
	v_fma_f64 v[16:17], v[6:7], v[14:15], -v[46:47]
	s_waitcnt vmcnt(0)
	s_barrier
	v_fma_f64 v[14:15], v[22:23], v[14:15], v[10:11]
	v_add_f64 v[10:11], v[30:31], -v[32:33]
	v_add_f64 v[22:23], v[56:57], -v[42:43]
	v_add_f64 v[16:17], v[48:49], -v[16:17]
	v_add_f64 v[14:15], v[2:3], -v[14:15]
	v_fma_f64 v[48:49], v[48:49], 2.0, -v[16:17]
	v_fma_f64 v[32:33], v[2:3], 2.0, -v[14:15]
	;; [unrolled: 1-line block ×3, first 2 shown]
	v_add_f64 v[22:23], v[16:17], -v[22:23]
	v_lshl_add_u32 v56, v25, 3, 0
	v_add_f64 v[42:43], v[32:33], -v[2:3]
	v_mul_f64 v[6:7], v[20:21], v[28:29]
	v_fma_f64 v[6:7], v[4:5], v[26:27], -v[6:7]
	v_add_f64 v[18:19], v[0:1], -v[6:7]
	v_add_f64 v[6:7], v[52:53], -v[44:45]
	v_fma_f64 v[46:47], v[0:1], 2.0, -v[18:19]
	v_fma_f64 v[0:1], v[52:53], 2.0, -v[6:7]
	v_add_f64 v[44:45], v[18:19], -v[10:11]
	v_add_f64 v[52:53], v[14:15], v[12:13]
	v_fma_f64 v[12:13], v[50:51], 2.0, -v[12:13]
	v_add_f64 v[57:58], v[46:47], -v[0:1]
	v_fma_f64 v[0:1], v[22:23], s[2:3], v[44:45]
	v_fma_f64 v[18:19], v[18:19], 2.0, -v[44:45]
	v_fma_f64 v[14:15], v[14:15], 2.0, -v[52:53]
	v_fma_f64 v[2:3], v[52:53], s[4:5], v[0:1]
	v_add_f64 v[0:1], v[57:58], -v[42:43]
	v_mul_f64 v[52:53], v[52:53], s[2:3]
	v_mul_f64 v[50:51], v[14:15], s[2:3]
	v_fma_f64 v[61:62], v[44:45], 2.0, -v[2:3]
	v_add_f64 v[44:45], v[48:49], -v[12:13]
	v_fma_f64 v[12:13], v[16:17], 2.0, -v[22:23]
	v_fma_f64 v[16:17], v[46:47], 2.0, -v[57:58]
	;; [unrolled: 1-line block ×3, first 2 shown]
	v_add_u32_e32 v57, 0xc00, v55
	v_fma_f64 v[46:47], v[48:49], 2.0, -v[44:45]
	v_fma_f64 v[48:49], v[12:13], s[4:5], v[18:19]
	ds_write2_b64 v56, v[59:60], v[61:62] offset0:24 offset1:36
	v_add_f64 v[46:47], v[16:17], -v[46:47]
	v_fma_f64 v[48:49], v[14:15], s[4:5], v[48:49]
	v_fma_f64 v[16:17], v[16:17], 2.0, -v[46:47]
	v_fma_f64 v[18:19], v[18:19], 2.0, -v[48:49]
	ds_write2_b64 v56, v[46:47], v[48:49] offset0:48 offset1:60
	v_mul_f64 v[48:49], v[22:23], s[2:3]
	v_mul_f64 v[46:47], v[12:13], s[2:3]
	ds_write2_b64 v56, v[0:1], v[2:3] offset0:72 offset1:84
	ds_write2_b64 v56, v[16:17], v[18:19] offset1:12
	s_waitcnt lgkmcnt(0)
	s_barrier
	ds_read2_b64 v[12:15], v55 offset1:144
	ds_read2_b64 v[16:19], v24 offset1:144
	ds_read2_b64 v[22:25], v57 offset1:144
	s_and_saveexec_b64 s[2:3], s[0:1]
	s_cbranch_execz .LBB0_21
; %bb.20:
	v_add_u32_e32 v0, 0x100, v55
	ds_read2st64_b64 v[0:3], v0 offset0:4 offset1:10
	ds_read_b64 v[34:35], v55 offset:8448
.LBB0_21:
	s_or_b64 exec, exec, s[2:3]
	v_mul_f64 v[4:5], v[4:5], v[28:29]
	v_fma_f64 v[10:11], v[30:31], 2.0, -v[10:11]
	v_fma_f64 v[28:29], v[32:33], 2.0, -v[42:43]
	s_waitcnt lgkmcnt(0)
	s_barrier
	v_add_u32_e32 v42, 0x1800, v55
	v_fma_f64 v[4:5], v[20:21], v[26:27], v[4:5]
	v_add_f64 v[4:5], v[8:9], -v[4:5]
	v_fma_f64 v[8:9], v[8:9], 2.0, -v[4:5]
	v_add_f64 v[20:21], v[4:5], v[6:7]
	v_add_f64 v[10:11], v[8:9], -v[10:11]
	v_fma_f64 v[26:27], v[4:5], 2.0, -v[20:21]
	v_add_f64 v[6:7], v[20:21], v[52:53]
	v_fma_f64 v[8:9], v[8:9], 2.0, -v[10:11]
	v_add_f64 v[30:31], v[26:27], -v[50:51]
	v_add_f64 v[4:5], v[10:11], v[44:45]
	v_add_f64 v[6:7], v[48:49], v[6:7]
	v_add_f64 v[28:29], v[8:9], -v[28:29]
	v_add_f64 v[30:31], v[46:47], v[30:31]
	v_fma_f64 v[10:11], v[10:11], 2.0, -v[4:5]
	v_fma_f64 v[20:21], v[20:21], 2.0, -v[6:7]
	;; [unrolled: 1-line block ×4, first 2 shown]
	ds_write2_b64 v56, v[4:5], v[6:7] offset0:72 offset1:84
	ds_write2_b64 v56, v[10:11], v[20:21] offset0:24 offset1:36
	ds_write2_b64 v56, v[28:29], v[30:31] offset0:48 offset1:60
	ds_write2_b64 v56, v[8:9], v[26:27] offset1:12
	s_waitcnt lgkmcnt(0)
	s_barrier
	ds_read2_b64 v[8:11], v55 offset1:144
	ds_read2_b64 v[30:33], v57 offset1:144
	;; [unrolled: 1-line block ×3, first 2 shown]
	s_and_saveexec_b64 s[2:3], s[0:1]
	s_cbranch_execz .LBB0_23
; %bb.22:
	v_add_u32_e32 v4, 0x100, v55
	ds_read2st64_b64 v[4:7], v4 offset0:4 offset1:10
	ds_read_b64 v[36:37], v55 offset:8448
.LBB0_23:
	s_or_b64 exec, exec, s[2:3]
	v_add_u32_e32 v20, 0xffffffa0, v38
	v_cndmask_b32_e64 v62, v20, v38, s[0:1]
	v_lshlrev_b32_e32 v20, 1, v62
	v_mov_b32_e32 v21, 0
	v_lshlrev_b64 v[20:21], 4, v[20:21]
	v_mov_b32_e32 v42, s9
	v_add_co_u32_e64 v56, s[2:3], s8, v20
	v_addc_co_u32_e64 v57, s[2:3], v42, v21, s[2:3]
	s_mov_b32 s2, 0xaaab
	v_mul_u32_u24_sdwa v20, v54, s2 dst_sel:DWORD dst_unused:UNUSED_PAD src0_sel:WORD_0 src1_sel:DWORD
	v_lshrrev_b32_e32 v63, 22, v20
	v_mul_lo_u16_e32 v20, 0x60, v63
	v_sub_u16_e32 v64, v54, v20
	global_load_dwordx4 v[42:45], v[56:57], off offset:1472
	v_lshlrev_b32_e32 v20, 5, v64
	global_load_dwordx4 v[46:49], v20, s[8:9] offset:1472
	global_load_dwordx4 v[50:53], v20, s[8:9] offset:1488
	s_mov_b32 s4, 0xe8584caa
	s_mov_b32 s5, 0x3febb67a
	;; [unrolled: 1-line block ×4, first 2 shown]
	s_waitcnt vmcnt(2) lgkmcnt(1)
	v_mul_f64 v[20:21], v[30:31], v[44:45]
	s_waitcnt vmcnt(1)
	v_mul_f64 v[58:59], v[32:33], v[48:49]
	v_mul_f64 v[44:45], v[22:23], v[44:45]
	;; [unrolled: 1-line block ×3, first 2 shown]
	v_fma_f64 v[20:21], v[22:23], v[42:43], -v[20:21]
	v_fma_f64 v[22:23], v[24:25], v[46:47], -v[58:59]
	global_load_dwordx4 v[56:59], v[56:57], off offset:1488
	v_mul_u32_u24_sdwa v24, v39, s2 dst_sel:DWORD dst_unused:UNUSED_PAD src0_sel:WORD_0 src1_sel:DWORD
	v_lshrrev_b32_e32 v24, 22, v24
	v_mul_lo_u16_e32 v24, 0x60, v24
	v_sub_u16_e32 v65, v39, v24
	v_lshlrev_b32_e32 v39, 5, v65
	v_fma_f64 v[24:25], v[30:31], v[42:43], v[44:45]
	v_fma_f64 v[30:31], v[32:33], v[46:47], v[48:49]
	global_load_dwordx4 v[42:45], v39, s[8:9] offset:1472
	s_waitcnt vmcnt(2) lgkmcnt(0)
	v_mul_f64 v[46:47], v[28:29], v[52:53]
	v_mul_f64 v[52:53], v[18:19], v[52:53]
	s_movk_i32 s2, 0x5f
	v_cmp_lt_u32_e64 s[2:3], s2, v38
	v_fma_f64 v[28:29], v[28:29], v[50:51], v[52:53]
	s_waitcnt vmcnt(1)
	v_mul_f64 v[60:61], v[26:27], v[58:59]
	v_mul_f64 v[58:59], v[16:17], v[58:59]
	v_fma_f64 v[32:33], v[16:17], v[56:57], -v[60:61]
	v_fma_f64 v[16:17], v[18:19], v[50:51], -v[46:47]
	global_load_dwordx4 v[46:49], v39, s[8:9] offset:1488
	v_mov_b32_e32 v18, 0x900
	v_cndmask_b32_e64 v39, 0, v18, s[2:3]
	v_fma_f64 v[18:19], v[26:27], v[56:57], v[58:59]
	s_waitcnt vmcnt(1)
	v_mul_f64 v[52:53], v[6:7], v[44:45]
	v_mul_f64 v[44:45], v[2:3], v[44:45]
	v_add_f64 v[26:27], v[20:21], v[32:33]
	v_add_f64 v[50:51], v[22:23], v[16:17]
	v_lshlrev_b32_e32 v56, 3, v62
	v_add3_u32 v39, 0, v39, v56
	v_add_f64 v[60:61], v[30:31], -v[28:29]
	v_add_f64 v[56:57], v[24:25], -v[18:19]
	s_waitcnt vmcnt(0)
	s_barrier
	v_fma_f64 v[58:59], v[26:27], -0.5, v[12:13]
	v_fma_f64 v[26:27], v[2:3], v[42:43], -v[52:53]
	v_fma_f64 v[42:43], v[6:7], v[42:43], v[44:45]
	v_add_f64 v[6:7], v[12:13], v[20:21]
	v_fma_f64 v[50:51], v[50:51], -0.5, v[14:15]
	v_add_f64 v[12:13], v[14:15], v[22:23]
	v_fma_f64 v[14:15], v[56:57], s[4:5], v[58:59]
	v_fma_f64 v[52:53], v[56:57], s[6:7], v[58:59]
	v_mul_u32_u24_e32 v58, 0x900, v63
	v_add_f64 v[6:7], v[6:7], v[32:33]
	v_fma_f64 v[56:57], v[60:61], s[4:5], v[50:51]
	v_add_f64 v[12:13], v[12:13], v[16:17]
	v_fma_f64 v[50:51], v[60:61], s[6:7], v[50:51]
	v_lshlrev_b32_e32 v59, 3, v64
	v_mul_f64 v[2:3], v[36:37], v[48:49]
	v_mul_f64 v[48:49], v[34:35], v[48:49]
	v_fma_f64 v[44:45], v[34:35], v[46:47], -v[2:3]
	v_fma_f64 v[34:35], v[36:37], v[46:47], v[48:49]
	v_add3_u32 v37, 0, v58, v59
	v_lshl_add_u32 v36, v65, 3, 0
	ds_write2_b64 v39, v[6:7], v[14:15] offset1:96
	ds_write_b64 v39, v[52:53] offset:1536
	ds_write2_b64 v37, v[12:13], v[56:57] offset1:96
	ds_write_b64 v37, v[50:51] offset:1536
	s_and_saveexec_b64 s[2:3], s[0:1]
	s_cbranch_execz .LBB0_25
; %bb.24:
	v_add_f64 v[2:3], v[26:27], v[44:45]
	v_add_f64 v[6:7], v[42:43], -v[34:35]
	v_add_f64 v[12:13], v[0:1], v[26:27]
	v_fma_f64 v[0:1], v[2:3], -0.5, v[0:1]
	v_add_f64 v[2:3], v[12:13], v[44:45]
	v_fma_f64 v[12:13], v[6:7], s[4:5], v[0:1]
	v_fma_f64 v[0:1], v[6:7], s[6:7], v[0:1]
	v_add_u32_e32 v6, 0x1800, v36
	ds_write2_b64 v6, v[2:3], v[12:13] offset0:96 offset1:192
	ds_write_b64 v36, v[0:1] offset:8448
.LBB0_25:
	s_or_b64 exec, exec, s[2:3]
	v_add_f64 v[0:1], v[24:25], v[18:19]
	v_add_f64 v[2:3], v[30:31], v[28:29]
	;; [unrolled: 1-line block ×3, first 2 shown]
	v_add_f64 v[12:13], v[20:21], -v[32:33]
	v_add_f64 v[14:15], v[10:11], v[30:31]
	s_waitcnt lgkmcnt(0)
	s_barrier
	v_fma_f64 v[0:1], v[0:1], -0.5, v[8:9]
	v_add_f64 v[8:9], v[22:23], -v[16:17]
	v_fma_f64 v[2:3], v[2:3], -0.5, v[10:11]
	v_add_f64 v[18:19], v[6:7], v[18:19]
	v_add_f64 v[20:21], v[14:15], v[28:29]
	v_add_u32_e32 v6, 0x800, v55
	v_add_u32_e32 v10, 0x1000, v55
	;; [unrolled: 1-line block ×3, first 2 shown]
	v_fma_f64 v[22:23], v[12:13], s[6:7], v[0:1]
	v_fma_f64 v[24:25], v[12:13], s[4:5], v[0:1]
	;; [unrolled: 1-line block ×4, first 2 shown]
	ds_read2_b64 v[0:3], v55 offset1:144
	ds_read2_b64 v[6:9], v6 offset0:32 offset1:176
	ds_read2_b64 v[10:13], v10 offset0:64 offset1:208
	;; [unrolled: 1-line block ×3, first 2 shown]
	s_waitcnt lgkmcnt(0)
	s_barrier
	ds_write2_b64 v39, v[18:19], v[22:23] offset1:96
	ds_write_b64 v39, v[24:25] offset:1536
	ds_write2_b64 v37, v[20:21], v[28:29] offset1:96
	ds_write_b64 v37, v[30:31] offset:1536
	s_and_saveexec_b64 s[2:3], s[0:1]
	s_cbranch_execz .LBB0_27
; %bb.26:
	v_add_f64 v[18:19], v[42:43], v[34:35]
	v_add_f64 v[20:21], v[4:5], v[42:43]
	v_add_f64 v[22:23], v[26:27], -v[44:45]
	s_mov_b32 s1, 0xbfebb67a
	s_mov_b32 s0, 0xe8584caa
	v_fma_f64 v[4:5], v[18:19], -0.5, v[4:5]
	v_add_f64 v[18:19], v[20:21], v[34:35]
	v_fma_f64 v[20:21], v[22:23], s[0:1], v[4:5]
	s_mov_b32 s1, 0x3febb67a
	v_fma_f64 v[4:5], v[22:23], s[0:1], v[4:5]
	v_add_u32_e32 v22, 0x1800, v36
	ds_write2_b64 v22, v[18:19], v[20:21] offset0:96 offset1:192
	ds_write_b64 v36, v[4:5] offset:8448
.LBB0_27:
	s_or_b64 exec, exec, s[2:3]
	s_waitcnt lgkmcnt(0)
	s_barrier
	s_and_saveexec_b64 s[0:1], vcc
	s_cbranch_execz .LBB0_29
; %bb.28:
	v_mul_u32_u24_e32 v4, 3, v38
	v_lshlrev_b32_e32 v4, 4, v4
	v_mov_b32_e32 v22, s9
	v_add_co_u32_e32 v26, vcc, s8, v4
	s_movk_i32 s0, 0x11c0
	v_addc_co_u32_e32 v27, vcc, 0, v22, vcc
	v_add_co_u32_e32 v4, vcc, s0, v26
	v_mul_u32_u24_e32 v23, 3, v54
	v_addc_co_u32_e32 v5, vcc, 0, v27, vcc
	v_lshlrev_b32_e32 v23, 4, v23
	v_add_co_u32_e32 v39, vcc, s8, v23
	s_movk_i32 s2, 0x1000
	global_load_dwordx4 v[18:21], v[4:5], off offset:16
	v_addc_co_u32_e32 v44, vcc, 0, v22, vcc
	global_load_dwordx4 v[22:25], v[4:5], off offset:32
	v_add_co_u32_e64 v4, s[0:1], s2, v26
	v_addc_co_u32_e64 v5, s[0:1], 0, v27, s[0:1]
	global_load_dwordx4 v[26:29], v[4:5], off offset:448
	v_add_co_u32_e32 v42, vcc, 0x11c0, v39
	v_addc_co_u32_e32 v43, vcc, 0, v44, vcc
	v_add_co_u32_e32 v4, vcc, 0x1000, v39
	v_addc_co_u32_e32 v5, vcc, 0, v44, vcc
	global_load_dwordx4 v[30:33], v[42:43], off offset:16
	global_load_dwordx4 v[34:37], v[42:43], off offset:32
	v_add_u32_e32 v59, 0x800, v55
	global_load_dwordx4 v[42:45], v[4:5], off offset:448
	v_add_u32_e32 v4, 0x1000, v55
	v_mov_b32_e32 v60, s13
	v_add_co_u32_e32 v40, vcc, s12, v40
	v_add_u32_e32 v5, 0x1800, v55
	ds_read2_b64 v[46:49], v55 offset1:144
	ds_read2_b64 v[50:53], v4 offset0:64 offset1:208
	ds_read2_b64 v[55:58], v5 offset0:96 offset1:240
	v_addc_co_u32_e32 v41, vcc, v60, v41, vcc
	ds_read2_b64 v[59:62], v59 offset0:32 offset1:176
	v_mov_b32_e32 v39, 0
	v_lshlrev_b64 v[4:5], 4, v[38:39]
	s_movk_i32 s0, 0x2000
	v_add_co_u32_e32 v40, vcc, v40, v4
	v_addc_co_u32_e32 v41, vcc, v41, v5, vcc
	v_add_co_u32_e32 v63, vcc, s2, v40
	v_addc_co_u32_e32 v64, vcc, 0, v41, vcc
	v_add_co_u32_e32 v65, vcc, s0, v40
	s_movk_i32 s1, 0x3000
	s_mov_b32 s3, 0x38e38e39
	v_addc_co_u32_e32 v66, vcc, 0, v41, vcc
	v_mul_hi_u32 v38, v54, s3
	v_add_co_u32_e32 v67, vcc, s1, v40
	v_addc_co_u32_e32 v68, vcc, 0, v41, vcc
	v_lshrrev_b32_e32 v38, 6, v38
	v_mul_u32_u24_e32 v38, 0x360, v38
	s_waitcnt vmcnt(5)
	v_mul_f64 v[4:5], v[10:11], v[20:21]
	s_waitcnt lgkmcnt(2)
	v_mul_f64 v[20:21], v[50:51], v[20:21]
	s_waitcnt vmcnt(4) lgkmcnt(1)
	v_mul_f64 v[69:70], v[55:56], v[24:25]
	v_mul_f64 v[24:25], v[14:15], v[24:25]
	s_waitcnt vmcnt(3) lgkmcnt(0)
	v_mul_f64 v[71:72], v[59:60], v[28:29]
	v_mul_f64 v[28:29], v[6:7], v[28:29]
	v_fma_f64 v[4:5], v[50:51], v[18:19], v[4:5]
	v_fma_f64 v[10:11], v[10:11], v[18:19], -v[20:21]
	v_fma_f64 v[14:15], v[14:15], v[22:23], -v[69:70]
	v_fma_f64 v[22:23], v[22:23], v[55:56], v[24:25]
	s_waitcnt vmcnt(2)
	v_mul_f64 v[18:19], v[12:13], v[32:33]
	v_mul_f64 v[20:21], v[52:53], v[32:33]
	s_waitcnt vmcnt(1)
	v_mul_f64 v[24:25], v[57:58], v[36:37]
	v_mul_f64 v[32:33], v[16:17], v[36:37]
	v_fma_f64 v[6:7], v[6:7], v[26:27], -v[71:72]
	v_fma_f64 v[26:27], v[26:27], v[59:60], v[28:29]
	s_waitcnt vmcnt(0)
	v_mul_f64 v[28:29], v[8:9], v[44:45]
	v_mul_f64 v[36:37], v[61:62], v[44:45]
	v_fma_f64 v[18:19], v[52:53], v[30:31], v[18:19]
	v_fma_f64 v[12:13], v[12:13], v[30:31], -v[20:21]
	v_fma_f64 v[16:17], v[16:17], v[34:35], -v[24:25]
	v_fma_f64 v[20:21], v[34:35], v[57:58], v[32:33]
	v_add_f64 v[14:15], v[6:7], -v[14:15]
	v_add_f64 v[30:31], v[0:1], -v[10:11]
	v_fma_f64 v[24:25], v[42:43], v[61:62], v[28:29]
	v_fma_f64 v[8:9], v[8:9], v[42:43], -v[36:37]
	v_add_f64 v[28:29], v[46:47], -v[4:5]
	v_add_f64 v[32:33], v[48:49], -v[18:19]
	;; [unrolled: 1-line block ×4, first 2 shown]
	v_fma_f64 v[6:7], v[6:7], 2.0, -v[14:15]
	v_fma_f64 v[0:1], v[0:1], 2.0, -v[30:31]
	v_add_f64 v[10:11], v[24:25], -v[20:21]
	v_add_f64 v[12:13], v[8:9], -v[16:17]
	v_add_f64 v[4:5], v[28:29], v[14:15]
	v_fma_f64 v[36:37], v[48:49], 2.0, -v[32:33]
	v_fma_f64 v[42:43], v[2:3], 2.0, -v[34:35]
	;; [unrolled: 1-line block ×4, first 2 shown]
	v_add_f64 v[2:3], v[30:31], -v[22:23]
	v_fma_f64 v[14:15], v[24:25], 2.0, -v[10:11]
	v_fma_f64 v[18:19], v[8:9], 2.0, -v[12:13]
	v_add_f64 v[6:7], v[0:1], -v[6:7]
	v_add_f64 v[12:13], v[32:33], v[12:13]
	v_add_f64 v[10:11], v[34:35], -v[10:11]
	v_add_f64 v[8:9], v[26:27], -v[16:17]
	v_fma_f64 v[16:17], v[28:29], 2.0, -v[4:5]
	v_add_f64 v[20:21], v[36:37], -v[14:15]
	v_add_f64 v[18:19], v[42:43], -v[18:19]
	v_fma_f64 v[14:15], v[30:31], 2.0, -v[2:3]
	v_fma_f64 v[22:23], v[0:1], 2.0, -v[6:7]
	global_store_dwordx4 v[67:68], v[2:5], off offset:1536
	v_fma_f64 v[28:29], v[32:33], 2.0, -v[12:13]
	v_fma_f64 v[24:25], v[26:27], 2.0, -v[8:9]
	;; [unrolled: 1-line block ×5, first 2 shown]
	v_lshlrev_b64 v[4:5], 4, v[38:39]
	global_store_dwordx4 v[63:64], v[14:17], off offset:512
	global_store_dwordx4 v[65:66], v[6:9], off offset:1024
	global_store_dwordx4 v[40:41], v[22:25], off
	v_add_co_u32_e32 v4, vcc, v40, v4
	v_addc_co_u32_e32 v5, vcc, v41, v5, vcc
	global_store_dwordx4 v[4:5], v[0:3], off offset:2304
	s_nop 0
	v_add_co_u32_e32 v0, vcc, s2, v4
	v_addc_co_u32_e32 v1, vcc, 0, v5, vcc
	global_store_dwordx4 v[0:1], v[26:29], off offset:2816
	v_add_co_u32_e32 v0, vcc, 0x2000, v4
	v_addc_co_u32_e32 v1, vcc, 0, v5, vcc
	global_store_dwordx4 v[0:1], v[18:21], off offset:3328
	;; [unrolled: 3-line block ×3, first 2 shown]
.LBB0_29:
	s_endpgm
	.section	.rodata,"a",@progbits
	.p2align	6, 0x0
	.amdhsa_kernel fft_rtc_fwd_len1152_factors_4_3_8_3_4_wgs_144_tpt_144_halfLds_dp_ip_CI_unitstride_sbrr_dirReg
		.amdhsa_group_segment_fixed_size 0
		.amdhsa_private_segment_fixed_size 0
		.amdhsa_kernarg_size 88
		.amdhsa_user_sgpr_count 6
		.amdhsa_user_sgpr_private_segment_buffer 1
		.amdhsa_user_sgpr_dispatch_ptr 0
		.amdhsa_user_sgpr_queue_ptr 0
		.amdhsa_user_sgpr_kernarg_segment_ptr 1
		.amdhsa_user_sgpr_dispatch_id 0
		.amdhsa_user_sgpr_flat_scratch_init 0
		.amdhsa_user_sgpr_private_segment_size 0
		.amdhsa_uses_dynamic_stack 0
		.amdhsa_system_sgpr_private_segment_wavefront_offset 0
		.amdhsa_system_sgpr_workgroup_id_x 1
		.amdhsa_system_sgpr_workgroup_id_y 0
		.amdhsa_system_sgpr_workgroup_id_z 0
		.amdhsa_system_sgpr_workgroup_info 0
		.amdhsa_system_vgpr_workitem_id 0
		.amdhsa_next_free_vgpr 73
		.amdhsa_next_free_sgpr 22
		.amdhsa_reserve_vcc 1
		.amdhsa_reserve_flat_scratch 0
		.amdhsa_float_round_mode_32 0
		.amdhsa_float_round_mode_16_64 0
		.amdhsa_float_denorm_mode_32 3
		.amdhsa_float_denorm_mode_16_64 3
		.amdhsa_dx10_clamp 1
		.amdhsa_ieee_mode 1
		.amdhsa_fp16_overflow 0
		.amdhsa_exception_fp_ieee_invalid_op 0
		.amdhsa_exception_fp_denorm_src 0
		.amdhsa_exception_fp_ieee_div_zero 0
		.amdhsa_exception_fp_ieee_overflow 0
		.amdhsa_exception_fp_ieee_underflow 0
		.amdhsa_exception_fp_ieee_inexact 0
		.amdhsa_exception_int_div_zero 0
	.end_amdhsa_kernel
	.text
.Lfunc_end0:
	.size	fft_rtc_fwd_len1152_factors_4_3_8_3_4_wgs_144_tpt_144_halfLds_dp_ip_CI_unitstride_sbrr_dirReg, .Lfunc_end0-fft_rtc_fwd_len1152_factors_4_3_8_3_4_wgs_144_tpt_144_halfLds_dp_ip_CI_unitstride_sbrr_dirReg
                                        ; -- End function
	.section	.AMDGPU.csdata,"",@progbits
; Kernel info:
; codeLenInByte = 5816
; NumSgprs: 26
; NumVgprs: 73
; ScratchSize: 0
; MemoryBound: 1
; FloatMode: 240
; IeeeMode: 1
; LDSByteSize: 0 bytes/workgroup (compile time only)
; SGPRBlocks: 3
; VGPRBlocks: 18
; NumSGPRsForWavesPerEU: 26
; NumVGPRsForWavesPerEU: 73
; Occupancy: 3
; WaveLimiterHint : 1
; COMPUTE_PGM_RSRC2:SCRATCH_EN: 0
; COMPUTE_PGM_RSRC2:USER_SGPR: 6
; COMPUTE_PGM_RSRC2:TRAP_HANDLER: 0
; COMPUTE_PGM_RSRC2:TGID_X_EN: 1
; COMPUTE_PGM_RSRC2:TGID_Y_EN: 0
; COMPUTE_PGM_RSRC2:TGID_Z_EN: 0
; COMPUTE_PGM_RSRC2:TIDIG_COMP_CNT: 0
	.type	__hip_cuid_79d8ad394c3dae30,@object ; @__hip_cuid_79d8ad394c3dae30
	.section	.bss,"aw",@nobits
	.globl	__hip_cuid_79d8ad394c3dae30
__hip_cuid_79d8ad394c3dae30:
	.byte	0                               ; 0x0
	.size	__hip_cuid_79d8ad394c3dae30, 1

	.ident	"AMD clang version 19.0.0git (https://github.com/RadeonOpenCompute/llvm-project roc-6.4.0 25133 c7fe45cf4b819c5991fe208aaa96edf142730f1d)"
	.section	".note.GNU-stack","",@progbits
	.addrsig
	.addrsig_sym __hip_cuid_79d8ad394c3dae30
	.amdgpu_metadata
---
amdhsa.kernels:
  - .args:
      - .actual_access:  read_only
        .address_space:  global
        .offset:         0
        .size:           8
        .value_kind:     global_buffer
      - .offset:         8
        .size:           8
        .value_kind:     by_value
      - .actual_access:  read_only
        .address_space:  global
        .offset:         16
        .size:           8
        .value_kind:     global_buffer
      - .actual_access:  read_only
        .address_space:  global
        .offset:         24
        .size:           8
        .value_kind:     global_buffer
      - .offset:         32
        .size:           8
        .value_kind:     by_value
      - .actual_access:  read_only
        .address_space:  global
        .offset:         40
        .size:           8
        .value_kind:     global_buffer
      - .actual_access:  read_only
        .address_space:  global
        .offset:         48
        .size:           8
        .value_kind:     global_buffer
      - .offset:         56
        .size:           4
        .value_kind:     by_value
      - .actual_access:  read_only
        .address_space:  global
        .offset:         64
        .size:           8
        .value_kind:     global_buffer
      - .actual_access:  read_only
        .address_space:  global
        .offset:         72
        .size:           8
        .value_kind:     global_buffer
      - .address_space:  global
        .offset:         80
        .size:           8
        .value_kind:     global_buffer
    .group_segment_fixed_size: 0
    .kernarg_segment_align: 8
    .kernarg_segment_size: 88
    .language:       OpenCL C
    .language_version:
      - 2
      - 0
    .max_flat_workgroup_size: 144
    .name:           fft_rtc_fwd_len1152_factors_4_3_8_3_4_wgs_144_tpt_144_halfLds_dp_ip_CI_unitstride_sbrr_dirReg
    .private_segment_fixed_size: 0
    .sgpr_count:     26
    .sgpr_spill_count: 0
    .symbol:         fft_rtc_fwd_len1152_factors_4_3_8_3_4_wgs_144_tpt_144_halfLds_dp_ip_CI_unitstride_sbrr_dirReg.kd
    .uniform_work_group_size: 1
    .uses_dynamic_stack: false
    .vgpr_count:     73
    .vgpr_spill_count: 0
    .wavefront_size: 64
amdhsa.target:   amdgcn-amd-amdhsa--gfx906
amdhsa.version:
  - 1
  - 2
...

	.end_amdgpu_metadata
